;; amdgpu-corpus repo=ROCm/rocFFT kind=compiled arch=gfx950 opt=O3
	.text
	.amdgcn_target "amdgcn-amd-amdhsa--gfx950"
	.amdhsa_code_object_version 6
	.protected	fft_rtc_back_len1496_factors_17_8_11_wgs_187_tpt_187_halfLds_half_ip_CI_sbrr_dirReg ; -- Begin function fft_rtc_back_len1496_factors_17_8_11_wgs_187_tpt_187_halfLds_half_ip_CI_sbrr_dirReg
	.globl	fft_rtc_back_len1496_factors_17_8_11_wgs_187_tpt_187_halfLds_half_ip_CI_sbrr_dirReg
	.p2align	8
	.type	fft_rtc_back_len1496_factors_17_8_11_wgs_187_tpt_187_halfLds_half_ip_CI_sbrr_dirReg,@function
fft_rtc_back_len1496_factors_17_8_11_wgs_187_tpt_187_halfLds_half_ip_CI_sbrr_dirReg: ; @fft_rtc_back_len1496_factors_17_8_11_wgs_187_tpt_187_halfLds_half_ip_CI_sbrr_dirReg
; %bb.0:
	s_load_dwordx2 s[12:13], s[0:1], 0x18
	s_load_dwordx4 s[4:7], s[0:1], 0x0
	s_load_dwordx2 s[10:11], s[0:1], 0x50
	v_mul_u32_u24_e32 v1, 0x15f, v0
	v_add_u32_sdwa v6, s2, v1 dst_sel:DWORD dst_unused:UNUSED_PAD src0_sel:DWORD src1_sel:WORD_1
	s_waitcnt lgkmcnt(0)
	s_load_dwordx2 s[8:9], s[12:13], 0x0
	v_mov_b32_e32 v4, 0
	v_cmp_lt_u64_e64 s[2:3], s[6:7], 2
	v_mov_b32_e32 v7, v4
	s_and_b64 vcc, exec, s[2:3]
	v_mov_b64_e32 v[2:3], 0
	s_cbranch_vccnz .LBB0_8
; %bb.1:
	s_load_dwordx2 s[2:3], s[0:1], 0x10
	s_add_u32 s14, s12, 8
	s_addc_u32 s15, s13, 0
	s_mov_b64 s[16:17], 1
	v_mov_b64_e32 v[2:3], 0
	s_waitcnt lgkmcnt(0)
	s_add_u32 s18, s2, 8
	s_addc_u32 s19, s3, 0
.LBB0_2:                                ; =>This Inner Loop Header: Depth=1
	s_load_dwordx2 s[20:21], s[18:19], 0x0
                                        ; implicit-def: $vgpr8_vgpr9
	s_waitcnt lgkmcnt(0)
	v_or_b32_e32 v5, s21, v7
	v_cmp_ne_u64_e32 vcc, 0, v[4:5]
	s_and_saveexec_b64 s[2:3], vcc
	s_xor_b64 s[22:23], exec, s[2:3]
	s_cbranch_execz .LBB0_4
; %bb.3:                                ;   in Loop: Header=BB0_2 Depth=1
	v_cvt_f32_u32_e32 v1, s20
	v_cvt_f32_u32_e32 v5, s21
	s_sub_u32 s2, 0, s20
	s_subb_u32 s3, 0, s21
	v_fmac_f32_e32 v1, 0x4f800000, v5
	v_rcp_f32_e32 v1, v1
	s_nop 0
	v_mul_f32_e32 v1, 0x5f7ffffc, v1
	v_mul_f32_e32 v5, 0x2f800000, v1
	v_trunc_f32_e32 v5, v5
	v_fmac_f32_e32 v1, 0xcf800000, v5
	v_cvt_u32_f32_e32 v5, v5
	v_cvt_u32_f32_e32 v1, v1
	v_mul_lo_u32 v8, s2, v5
	v_mul_hi_u32 v10, s2, v1
	v_mul_lo_u32 v9, s3, v1
	v_add_u32_e32 v10, v10, v8
	v_mul_lo_u32 v12, s2, v1
	v_add_u32_e32 v13, v10, v9
	v_mul_hi_u32 v8, v1, v12
	v_mul_hi_u32 v11, v1, v13
	v_mul_lo_u32 v10, v1, v13
	v_mov_b32_e32 v9, v4
	v_lshl_add_u64 v[8:9], v[8:9], 0, v[10:11]
	v_mul_hi_u32 v11, v5, v12
	v_mul_lo_u32 v12, v5, v12
	v_add_co_u32_e32 v8, vcc, v8, v12
	v_mul_hi_u32 v10, v5, v13
	s_nop 0
	v_addc_co_u32_e32 v8, vcc, v9, v11, vcc
	v_mov_b32_e32 v9, v4
	s_nop 0
	v_addc_co_u32_e32 v11, vcc, 0, v10, vcc
	v_mul_lo_u32 v10, v5, v13
	v_lshl_add_u64 v[8:9], v[8:9], 0, v[10:11]
	v_add_co_u32_e32 v1, vcc, v1, v8
	v_mul_lo_u32 v10, s2, v1
	s_nop 0
	v_addc_co_u32_e32 v5, vcc, v5, v9, vcc
	v_mul_lo_u32 v8, s2, v5
	v_mul_hi_u32 v9, s2, v1
	v_add_u32_e32 v8, v9, v8
	v_mul_lo_u32 v9, s3, v1
	v_add_u32_e32 v12, v8, v9
	v_mul_hi_u32 v14, v5, v10
	v_mul_lo_u32 v15, v5, v10
	v_mul_hi_u32 v9, v1, v12
	v_mul_lo_u32 v8, v1, v12
	v_mul_hi_u32 v10, v1, v10
	v_mov_b32_e32 v11, v4
	v_lshl_add_u64 v[8:9], v[10:11], 0, v[8:9]
	v_add_co_u32_e32 v8, vcc, v8, v15
	v_mul_hi_u32 v13, v5, v12
	s_nop 0
	v_addc_co_u32_e32 v8, vcc, v9, v14, vcc
	v_mul_lo_u32 v10, v5, v12
	s_nop 0
	v_addc_co_u32_e32 v11, vcc, 0, v13, vcc
	v_mov_b32_e32 v9, v4
	v_lshl_add_u64 v[8:9], v[8:9], 0, v[10:11]
	v_add_co_u32_e32 v1, vcc, v1, v8
	v_mul_hi_u32 v10, v6, v1
	s_nop 0
	v_addc_co_u32_e32 v5, vcc, v5, v9, vcc
	v_mad_u64_u32 v[8:9], s[2:3], v6, v5, 0
	v_mov_b32_e32 v11, v4
	v_lshl_add_u64 v[8:9], v[10:11], 0, v[8:9]
	v_mad_u64_u32 v[12:13], s[2:3], v7, v1, 0
	v_add_co_u32_e32 v1, vcc, v8, v12
	v_mad_u64_u32 v[10:11], s[2:3], v7, v5, 0
	s_nop 0
	v_addc_co_u32_e32 v8, vcc, v9, v13, vcc
	v_mov_b32_e32 v9, v4
	s_nop 0
	v_addc_co_u32_e32 v11, vcc, 0, v11, vcc
	v_lshl_add_u64 v[8:9], v[8:9], 0, v[10:11]
	v_mul_lo_u32 v1, s21, v8
	v_mul_lo_u32 v5, s20, v9
	v_mad_u64_u32 v[10:11], s[2:3], s20, v8, 0
	v_add3_u32 v1, v11, v5, v1
	v_sub_u32_e32 v5, v7, v1
	v_mov_b32_e32 v11, s21
	v_sub_co_u32_e32 v14, vcc, v6, v10
	v_lshl_add_u64 v[12:13], v[8:9], 0, 1
	s_nop 0
	v_subb_co_u32_e64 v5, s[2:3], v5, v11, vcc
	v_subrev_co_u32_e64 v10, s[2:3], s20, v14
	v_subb_co_u32_e32 v1, vcc, v7, v1, vcc
	s_nop 0
	v_subbrev_co_u32_e64 v5, s[2:3], 0, v5, s[2:3]
	v_cmp_le_u32_e64 s[2:3], s21, v5
	v_cmp_le_u32_e32 vcc, s21, v1
	s_nop 0
	v_cndmask_b32_e64 v11, 0, -1, s[2:3]
	v_cmp_le_u32_e64 s[2:3], s20, v10
	s_nop 1
	v_cndmask_b32_e64 v10, 0, -1, s[2:3]
	v_cmp_eq_u32_e64 s[2:3], s21, v5
	s_nop 1
	v_cndmask_b32_e64 v5, v11, v10, s[2:3]
	v_lshl_add_u64 v[10:11], v[8:9], 0, 2
	v_cmp_ne_u32_e64 s[2:3], 0, v5
	s_nop 1
	v_cndmask_b32_e64 v5, v13, v11, s[2:3]
	v_cndmask_b32_e64 v11, 0, -1, vcc
	v_cmp_le_u32_e32 vcc, s20, v14
	s_nop 1
	v_cndmask_b32_e64 v13, 0, -1, vcc
	v_cmp_eq_u32_e32 vcc, s21, v1
	s_nop 1
	v_cndmask_b32_e32 v1, v11, v13, vcc
	v_cmp_ne_u32_e32 vcc, 0, v1
	v_cndmask_b32_e64 v1, v12, v10, s[2:3]
	s_nop 0
	v_cndmask_b32_e32 v9, v9, v5, vcc
	v_cndmask_b32_e32 v8, v8, v1, vcc
.LBB0_4:                                ;   in Loop: Header=BB0_2 Depth=1
	s_andn2_saveexec_b64 s[2:3], s[22:23]
	s_cbranch_execz .LBB0_6
; %bb.5:                                ;   in Loop: Header=BB0_2 Depth=1
	v_cvt_f32_u32_e32 v1, s20
	s_sub_i32 s22, 0, s20
	v_rcp_iflag_f32_e32 v1, v1
	s_nop 0
	v_mul_f32_e32 v1, 0x4f7ffffe, v1
	v_cvt_u32_f32_e32 v1, v1
	v_mul_lo_u32 v5, s22, v1
	v_mul_hi_u32 v5, v1, v5
	v_add_u32_e32 v1, v1, v5
	v_mul_hi_u32 v1, v6, v1
	v_mul_lo_u32 v5, v1, s20
	v_sub_u32_e32 v5, v6, v5
	v_add_u32_e32 v8, 1, v1
	v_subrev_u32_e32 v9, s20, v5
	v_cmp_le_u32_e32 vcc, s20, v5
	s_nop 1
	v_cndmask_b32_e32 v5, v5, v9, vcc
	v_cndmask_b32_e32 v1, v1, v8, vcc
	v_add_u32_e32 v8, 1, v1
	v_cmp_le_u32_e32 vcc, s20, v5
	v_mov_b32_e32 v9, v4
	s_nop 0
	v_cndmask_b32_e32 v8, v1, v8, vcc
.LBB0_6:                                ;   in Loop: Header=BB0_2 Depth=1
	s_or_b64 exec, exec, s[2:3]
	v_mad_u64_u32 v[10:11], s[2:3], v8, s20, 0
	s_load_dwordx2 s[2:3], s[14:15], 0x0
	v_mul_lo_u32 v1, v9, s20
	v_mul_lo_u32 v5, v8, s21
	v_add3_u32 v1, v11, v5, v1
	v_sub_co_u32_e32 v5, vcc, v6, v10
	s_add_u32 s16, s16, 1
	s_nop 0
	v_subb_co_u32_e32 v1, vcc, v7, v1, vcc
	s_addc_u32 s17, s17, 0
	s_waitcnt lgkmcnt(0)
	v_mul_lo_u32 v1, s2, v1
	v_mul_lo_u32 v6, s3, v5
	v_mad_u64_u32 v[2:3], s[2:3], s2, v5, v[2:3]
	s_add_u32 s14, s14, 8
	v_add3_u32 v3, v6, v3, v1
	s_addc_u32 s15, s15, 0
	v_mov_b64_e32 v[6:7], s[6:7]
	s_add_u32 s18, s18, 8
	v_cmp_ge_u64_e32 vcc, s[16:17], v[6:7]
	s_addc_u32 s19, s19, 0
	s_cbranch_vccnz .LBB0_9
; %bb.7:                                ;   in Loop: Header=BB0_2 Depth=1
	v_mov_b64_e32 v[6:7], v[8:9]
	s_branch .LBB0_2
.LBB0_8:
	v_mov_b64_e32 v[8:9], v[6:7]
.LBB0_9:
	s_lshl_b64 s[2:3], s[6:7], 3
	s_add_u32 s2, s12, s2
	s_addc_u32 s3, s13, s3
	s_load_dwordx2 s[6:7], s[2:3], 0x0
	s_load_dwordx2 s[12:13], s[0:1], 0x20
	v_mov_b32_e32 v25, 0
                                        ; implicit-def: $vgpr13
                                        ; implicit-def: $vgpr14
                                        ; implicit-def: $vgpr15
                                        ; implicit-def: $vgpr16
                                        ; implicit-def: $vgpr17
                                        ; implicit-def: $vgpr10
                                        ; implicit-def: $vgpr18
                                        ; implicit-def: $vgpr11
                                        ; implicit-def: $vgpr19
                                        ; implicit-def: $vgpr12
                                        ; implicit-def: $vgpr20
                                        ; implicit-def: $vgpr30
                                        ; implicit-def: $vgpr21
                                        ; implicit-def: $vgpr38
                                        ; implicit-def: $vgpr22
                                        ; implicit-def: $vgpr37
                                        ; implicit-def: $vgpr23
                                        ; implicit-def: $vgpr36
                                        ; implicit-def: $vgpr24
                                        ; implicit-def: $vgpr35
                                        ; implicit-def: $vgpr26
                                        ; implicit-def: $vgpr34
                                        ; implicit-def: $vgpr27
                                        ; implicit-def: $vgpr33
                                        ; implicit-def: $vgpr28
                                        ; implicit-def: $vgpr32
                                        ; implicit-def: $vgpr29
                                        ; implicit-def: $vgpr31
	s_waitcnt lgkmcnt(0)
	v_mad_u64_u32 v[2:3], s[0:1], s6, v8, v[2:3]
	v_mul_lo_u32 v1, s6, v9
	v_mul_lo_u32 v4, s7, v8
	s_mov_b32 s0, 0x15e75bc
	v_add3_u32 v3, v4, v3, v1
	v_mul_hi_u32 v1, v0, s0
	v_mul_u32_u24_e32 v1, 0xbb, v1
	v_sub_u32_e32 v6, v0, v1
	s_movk_i32 s0, 0x58
	v_cmp_gt_u64_e32 vcc, s[12:13], v[8:9]
	v_cmp_gt_u32_e64 s[0:1], s0, v6
	s_and_b64 s[6:7], vcc, s[0:1]
	v_mov_b32_e32 v0, 0
	v_lshl_add_u64 v[4:5], v[2:3], 2, s[10:11]
                                        ; implicit-def: $vgpr1
                                        ; implicit-def: $vgpr2
                                        ; implicit-def: $vgpr3
                                        ; implicit-def: $vgpr9
	s_and_saveexec_b64 s[2:3], s[6:7]
	s_cbranch_execz .LBB0_11
; %bb.10:
	v_mad_u64_u32 v[0:1], s[6:7], s8, v6, 0
	v_mov_b32_e32 v2, v1
	v_mad_u64_u32 v[2:3], s[6:7], s9, v6, v[2:3]
	v_mov_b32_e32 v1, v2
	v_add_u32_e32 v3, 0x58, v6
	v_lshl_add_u64 v[14:15], v[0:1], 2, v[4:5]
	v_mad_u64_u32 v[0:1], s[6:7], s8, v3, 0
	v_mov_b32_e32 v2, v1
	v_mad_u64_u32 v[2:3], s[6:7], s9, v3, v[2:3]
	v_mov_b32_e32 v1, v2
	v_add_u32_e32 v3, 0xb0, v6
	v_lshl_add_u64 v[16:17], v[0:1], 2, v[4:5]
	;; [unrolled: 6-line block ×7, first 2 shown]
	v_mad_u64_u32 v[0:1], s[6:7], s8, v3, 0
	v_mov_b32_e32 v2, v1
	v_mad_u64_u32 v[2:3], s[6:7], s9, v3, v[2:3]
	v_mov_b32_e32 v1, v2
	v_lshl_add_u64 v[30:31], v[0:1], 2, v[4:5]
	global_load_dword v25, v[14:15], off
	global_load_dword v1, v[16:17], off
	;; [unrolled: 1-line block ×8, first 2 shown]
	v_add_u32_e32 v7, 0x2c0, v6
	v_mad_u64_u32 v[14:15], s[6:7], s8, v7, 0
	v_mov_b32_e32 v0, v15
	s_waitcnt vmcnt(6)
	v_mad_u64_u32 v[16:17], s[6:7], s9, v7, v[0:1]
	v_add_u32_e32 v7, 0x318, v6
	v_mov_b32_e32 v15, v16
	v_mad_u64_u32 v[16:17], s[6:7], s8, v7, 0
	v_mov_b32_e32 v0, v17
	v_mad_u64_u32 v[18:19], s[6:7], s9, v7, v[0:1]
	v_add_u32_e32 v7, 0x370, v6
	v_mov_b32_e32 v17, v18
	v_mad_u64_u32 v[18:19], s[6:7], s8, v7, 0
	v_mov_b32_e32 v0, v19
	;; [unrolled: 5-line block ×7, first 2 shown]
	v_mad_u64_u32 v[32:33], s[6:7], s9, v7, v[0:1]
	v_lshl_add_u64 v[14:15], v[14:15], 2, v[4:5]
	v_mov_b32_e32 v31, v32
	v_or_b32_e32 v7, 0x580, v6
	v_lshl_add_u64 v[16:17], v[16:17], 2, v[4:5]
	v_lshl_add_u64 v[18:19], v[18:19], 2, v[4:5]
	v_lshl_add_u64 v[20:21], v[20:21], 2, v[4:5]
	v_lshl_add_u64 v[22:23], v[22:23], 2, v[4:5]
	v_lshl_add_u64 v[26:27], v[26:27], 2, v[4:5]
	v_lshl_add_u64 v[28:29], v[28:29], 2, v[4:5]
	v_lshl_add_u64 v[38:39], v[30:31], 2, v[4:5]
	global_load_dword v30, v[14:15], off
	global_load_dword v31, v[16:17], off
	;; [unrolled: 1-line block ×8, first 2 shown]
	v_mad_u64_u32 v[14:15], s[6:7], s8, v7, 0
	v_mov_b32_e32 v0, v15
	v_mad_u64_u32 v[16:17], s[6:7], s9, v7, v[0:1]
	v_mov_b32_e32 v15, v16
	v_lshl_add_u64 v[14:15], v[14:15], 2, v[4:5]
	global_load_dword v38, v[14:15], off
	v_lshrrev_b32_e32 v0, 16, v25
	v_lshrrev_b32_e32 v13, 16, v1
	s_waitcnt vmcnt(14)
	v_lshrrev_b32_e32 v14, 16, v2
	s_waitcnt vmcnt(13)
	;; [unrolled: 2-line block ×15, first 2 shown]
	v_lshrrev_b32_e32 v21, 16, v38
.LBB0_11:
	s_or_b64 exec, exec, s[2:3]
	v_add_f16_e32 v60, v1, v38
	v_sub_f16_e32 v39, v13, v21
	s_mov_b32 s7, 0xbacdbbdd
	s_mov_b32 s11, 0xb836b1e1
	v_add_f16_e32 v58, v2, v37
	v_sub_f16_e32 v40, v14, v22
	v_pk_mul_f16 v67, v60, s7 op_sel_hi:[0,1]
	v_pk_mul_f16 v69, v39, s11 op_sel_hi:[0,1]
	s_mov_b32 s10, 0x37223b76
	s_mov_b32 s14, 0x3b2935c8
	v_add_f16_e32 v7, v69, v67
	v_pk_mul_f16 v66, v58, s10 op_sel_hi:[0,1]
	v_pk_mul_f16 v68, v40, s14 op_sel_hi:[0,1]
	v_add_f16_e32 v54, v3, v36
	v_sub_f16_e32 v41, v15, v23
	v_add_f16_e32 v7, v25, v7
	v_pk_fma_f16 v8, v60, s7, v69 op_sel_hi:[0,1,1] neg_lo:[0,0,1] neg_hi:[0,0,1]
	v_add_f16_e32 v45, v68, v66
	s_mov_b32 s12, 0x2de8bacd
	s_mov_b32 s16, 0xbbf7b836
	v_pk_add_f16 v8, v25, v8 op_sel_hi:[0,1]
	v_add_f16_e32 v7, v7, v45
	v_pk_fma_f16 v45, v58, s10, v68 op_sel_hi:[0,1,1] neg_lo:[0,0,1] neg_hi:[0,0,1]
	v_pk_mul_f16 v62, v54, s12 op_sel_hi:[0,1]
	v_pk_mul_f16 v64, v41, s16 op_sel_hi:[0,1]
	v_add_f16_e32 v50, v9, v35
	v_sub_f16_e32 v42, v16, v24
	v_pk_add_f16 v8, v8, v45
	v_add_f16_e32 v45, v64, v62
	s_mov_b32 s13, 0xb8d239e9
	s_mov_b32 s18, 0x3a623964
	v_add_f16_e32 v7, v7, v45
	v_pk_fma_f16 v45, v54, s12, v64 op_sel_hi:[0,1,1] neg_lo:[0,0,1] neg_hi:[0,0,1]
	v_pk_mul_f16 v61, v50, s13 op_sel_hi:[0,1]
	v_pk_mul_f16 v63, v42, s18 op_sel_hi:[0,1]
	v_add_f16_e32 v47, v10, v34
	v_sub_f16_e32 v43, v17, v26
	v_pk_add_f16 v8, v8, v45
	v_add_f16_e32 v45, v63, v61
	s_mov_b32 s15, 0x3b76b8d2
	s_mov_b32 s19, 0xb5c8ba62
	;; [unrolled: 10-line block ×3, first 2 shown]
	v_add_f16_e32 v7, v7, v45
	v_pk_fma_f16 v45, v47, s15, v59 op_sel_hi:[0,1,1] neg_lo:[0,0,1] neg_hi:[0,0,1]
	v_pk_mul_f16 v55, v48, s17 op_sel_hi:[0,1]
	v_pk_mul_f16 v56, v44, s21 op_sel_hi:[0,1]
	v_pk_add_f16 v8, v8, v45
	v_add_f16_e32 v45, v56, v55
	v_add_f16_e32 v7, v7, v45
	v_pk_fma_f16 v45, v48, s17, v56 op_sel_hi:[0,1,1] neg_lo:[0,0,1] neg_hi:[0,0,1]
	v_pk_add_f16 v8, v8, v45
	v_add_f16_e32 v65, v12, v32
	s_mov_b32 s20, 0x39e9b461
	s_mov_b32 s22, 0x3964bbb2
	v_sub_f16_e32 v45, v19, v28
	v_pk_mul_f16 v52, v65, s20 op_sel_hi:[0,1]
	v_pk_mul_f16 v53, v45, s22 op_sel_hi:[0,1]
	v_add_f16_e32 v46, v53, v52
	v_add_f16_e32 v7, v7, v46
	v_pk_fma_f16 v46, v65, s20, v53 op_sel_hi:[0,1,1] neg_lo:[0,0,1] neg_hi:[0,0,1]
	v_pk_add_f16 v8, v8, v46
	s_mov_b32 s23, 0xb4612de8
	s_mov_b32 s24, 0xbbb23bf7
	v_add_f16_e32 v70, v30, v31
	v_sub_f16_e32 v46, v20, v29
	v_pk_mul_f16 v49, v70, s23 op_sel_hi:[0,1]
	v_pk_mul_f16 v51, v46, s24 op_sel_hi:[0,1]
	v_add_f16_e32 v71, v51, v49
	v_add_f16_e32 v7, v7, v71
	v_pk_fma_f16 v71, v70, s23, v51 op_sel_hi:[0,1,1] neg_lo:[0,0,1] neg_hi:[0,0,1]
	v_pk_add_f16 v8, v8, v71
	s_mov_b32 s6, 0x5040100
	s_and_saveexec_b64 s[2:3], s[0:1]
	s_cbranch_execz .LBB0_13
; %bb.12:
	s_mov_b32 s25, 0xb8d2
	v_mul_f16_e32 v76, 0xba62, v39
	v_fma_f16 v77, v60, s25, -v76
	s_mov_b32 s25, 0xb461
	v_mul_f16_e32 v78, 0x3bb2, v40
	v_add_f16_e32 v77, v25, v77
	v_fma_f16 v79, v58, s25, -v78
	v_add_f16_e32 v77, v77, v79
	s_movk_i32 s25, 0x3b76
	v_mul_f16_e32 v79, 0xb5c8, v41
	v_fma_f16 v80, v54, s25, -v79
	v_add_f16_e32 v77, v77, v80
	s_mov_b32 s25, 0xbacd
	v_mul_f16_e32 v80, 0xb836, v42
	v_fma_f16 v81, v50, s25, -v80
	v_add_f16_e32 v77, v77, v81
	s_movk_i32 s25, 0x2de8
	v_mul_f16_e32 v81, 0x3bf7, v43
	v_fma_f16 v82, v47, s25, -v81
	v_add_f16_e32 v77, v77, v82
	s_movk_i32 s25, 0x39e9
	v_mul_f16_e32 v82, 0xb964, v44
	v_fma_f16 v83, v48, s25, -v82
	v_add_f16_e32 v77, v77, v83
	s_mov_b32 s25, 0xbbdd
	v_mul_f16_e32 v83, 0xb1e1, v45
	v_fma_f16 v84, v65, s25, -v83
	v_add_f16_e32 v77, v77, v84
	s_movk_i32 s25, 0x3722
	v_mul_f16_e32 v84, 0x3b29, v46
	v_fma_f16 v85, v70, s25, -v84
	v_add_f16_e32 v77, v77, v85
	v_mul_f16_e32 v85, 0x3722, v60
	s_mov_b32 s25, 0xbb29
	s_mov_b32 s26, 0xba62
	v_mul_f16_e32 v86, 0xb8d2, v58
	v_fma_f16 v93, v39, s25, v85
	v_mul_f16_e32 v87, 0xbbdd, v54
	s_movk_i32 s30, 0x31e1
	v_add_f16_e32 v93, v25, v93
	v_fma_f16 v94, v40, s26, v86
	s_movk_i32 s27, 0x3bb2
	v_mul_f16_e32 v88, 0xb461, v50
	v_add_f16_e32 v93, v93, v94
	v_fma_f16 v94, v41, s30, v87
	v_mul_f16_e32 v89, 0x39e9, v47
	s_movk_i32 s31, 0x3964
	v_add_f16_e32 v93, v93, v94
	v_fma_f16 v94, v42, s27, v88
	v_pack_b32_f16 v71, v60, v60
	s_mov_b32 s28, 0xb5c8
	v_mul_f16_e32 v90, 0x3b76, v48
	v_add_f16_e32 v93, v93, v94
	v_fma_f16 v94, v43, s31, v89
	s_mov_b32 s25, 0xffff
	v_mul_f16_e32 v60, 0xb8d2, v60
	v_pack_b32_f16 v73, v58, v58
	v_mul_f16_e32 v91, 0x2de8, v65
	s_mov_b32 s33, 0xbbf7
	v_add_f16_e32 v93, v93, v94
	v_fma_f16 v94, v44, s28, v90
	v_bfi_b32 v69, s25, v76, v69
	v_bfi_b32 v60, s25, v60, v67
	v_mul_f16_e32 v58, 0xb461, v58
	v_pack_b32_f16 v72, v39, v39
	v_pack_b32_f16 v75, v54, v54
	s_mov_b32 s29, 0xb836
	v_mul_f16_e32 v92, 0xbacd, v70
	v_add_f16_e32 v93, v93, v94
	v_fma_f16 v94, v45, s33, v91
	v_pk_add_f16 v60, v69, v60
	v_bfi_b32 v68, s25, v78, v68
	v_pk_mul_f16 v78, v71, s23
	s_mov_b32 s26, 0xbbb2bbf7
	v_bfi_b32 v58, s25, v58, v66
	v_mul_f16_e32 v54, 0x3b76, v54
	v_pack_b32_f16 v74, v40, v40
	v_add_f16_e32 v93, v93, v94
	v_fma_f16 v94, v46, s29, v92
	v_pack_b32_f16 v76, v50, v50
	v_pk_mul_f16 v66, v73, s7
	s_mov_b32 s27, 0x3836b1e1
	v_pk_add_f16 v58, v68, v58
	v_pk_fma_f16 v68, v72, s26, v78
	v_pk_add_f16 v60, v25, v60 op_sel_hi:[0,1]
	v_bfi_b32 v64, s25, v79, v64
	v_bfi_b32 v54, s25, v54, v62
	v_mul_f16_e32 v50, 0xbacd, v50
	v_add_f16_e32 v93, v93, v94
	v_pack_b32_f16 v94, v41, v41
	v_pack_b32_f16 v69, v47, v47
	v_pk_add_f16 v68, v25, v68 op_sel_hi:[0,1]
	v_pk_add_f16 v58, v60, v58
	v_pk_fma_f16 v60, v74, s27, v66
	v_pk_add_f16 v54, v64, v54
	v_pk_mul_f16 v64, v75, s20
	s_mov_b32 s28, 0x39643bb2
	v_bfi_b32 v63, s25, v80, v63
	v_bfi_b32 v50, s25, v50, v61
	v_mul_f16_e32 v47, 0x2de8, v47
	v_pack_b32_f16 v67, v42, v42
	v_pk_add_f16 v60, v68, v60
	v_pack_b32_f16 v79, v48, v48
	v_pk_add_f16 v54, v58, v54
	v_pk_fma_f16 v58, v94, s28, v64
	v_pk_add_f16 v50, v63, v50
	v_pk_mul_f16 v63, v76, s10
	s_mov_b32 s29, 0xbb2935c8
	v_mul_f16_e32 v48, 0x39e9, v48
	v_bfi_b32 v59, s25, v81, v59
	v_bfi_b32 v47, s25, v47, v57
	v_pack_b32_f16 v68, v43, v43
	v_pk_add_f16 v58, v60, v58
	v_pack_b32_f16 v60, v65, v65
	v_pk_add_f16 v50, v54, v50
	v_pk_fma_f16 v54, v67, s29, v63
	v_mul_f16_e32 v65, 0xbbdd, v65
	v_pk_mul_f16 v81, v69, s17
	s_mov_b32 s30, 0xb1e1bb29
	v_pk_add_f16 v47, v59, v47
	v_bfi_b32 v56, s25, v82, v56
	v_bfi_b32 v48, s25, v48, v55
	v_pack_b32_f16 v62, v44, v44
	v_pack_b32_f16 v61, v70, v70
	v_pk_add_f16 v54, v58, v54
	v_mul_f16_e32 v70, 0x3722, v70
	v_pk_mul_f16 v57, v79, s12
	s_mov_b32 s31, 0x3bf7b836
	v_pk_add_f16 v47, v50, v47
	v_pk_fma_f16 v50, v68, s30, v81
	s_mov_b32 s35, 0x39e93b76
	v_pk_add_f16 v48, v56, v48
	v_bfi_b32 v53, s25, v83, v53
	v_bfi_b32 v52, s25, v65, v52
	v_pack_b32_f16 v80, v45, v45
	v_pk_mul_f16 v59, v60, s15
	s_mov_b32 s33, 0xb5c83a62
	v_pk_add_f16 v50, v54, v50
	v_pk_mul_f16 v71, v71, s35
	s_mov_b32 s35, 0xb964b5c8
	s_mov_b32 s36, 0x2de839e9
	v_pk_add_f16 v47, v47, v48
	v_pk_fma_f16 v48, v62, s31, v57
	v_pk_add_f16 v52, v53, v52
	v_bfi_b32 v51, s25, v84, v51
	v_bfi_b32 v49, s25, v70, v49
	v_pack_b32_f16 v58, v46, v46
	v_pk_mul_f16 v54, v61, s13
	s_mov_b32 s34, 0xba623964
	v_pk_mul_f16 v82, v72, s35
	v_pk_mul_f16 v73, v73, s36
	s_mov_b32 s36, 0xbbf7b964
	s_mov_b32 s37, 0xb8d23722
	v_pk_add_f16 v48, v50, v48
	v_pk_add_f16 v47, v47, v52
	v_pk_fma_f16 v52, v80, s33, v59
	v_pk_add_f16 v49, v51, v49
	v_pk_mul_f16 v55, v74, s36
	v_pk_mul_f16 v75, v75, s37
	s_mov_b32 s37, 0xba62bb29
	s_mov_b32 s38, 0xbbdd2de8
	v_pk_add_f16 v48, v48, v52
	v_pk_fma_f16 v51, v58, s34, v54
	v_pk_add_f16 v49, v47, v49
	v_sub_f16_e32 v47, v71, v82
	v_pk_mul_f16 v56, v94, s37
	v_pk_mul_f16 v76, v76, s38
	s_mov_b32 s38, 0xb1e1bbf7
	s_mov_b32 s39, 0xbacdb461
	v_pk_add_f16 v48, v48, v51
	v_add_f16_e32 v47, v25, v47
	v_sub_f16_e32 v51, v73, v55
	v_pk_mul_f16 v50, v67, s38
	v_pk_mul_f16 v69, v69, s39
	s_mov_b32 s39, 0x3836bbb2
	s_mov_b32 s40, 0xb461b8d2
	v_add_f16_e32 v47, v47, v51
	v_sub_f16_e32 v51, v75, v56
	v_pk_mul_f16 v83, v68, s39
	v_pk_mul_f16 v79, v79, s40
	s_mov_b32 s40, 0x3bb2ba62
	s_mov_b32 s41, 0x3722bacd
	;; [unrolled: 6-line block ×3, first 2 shown]
	v_add_f16_e32 v47, v47, v51
	v_sub_f16_e32 v51, v69, v83
	v_pk_mul_f16 v53, v80, s41
	v_pk_mul_f16 v61, v61, s42
	s_mov_b32 s42, 0x35c8b1e1
	v_add_f16_e32 v47, v47, v51
	v_sub_f16_e32 v51, v79, v65
	v_pk_mul_f16 v52, v58, s42
	v_add_f16_e32 v47, v47, v51
	v_sub_f16_e32 v51, v60, v53
	v_add_f16_e32 v47, v47, v51
	v_sub_f16_e32 v51, v61, v52
	v_add_f16_e32 v51, v47, v51
	v_perm_b32 v47, v25, v25, s6
	v_pk_fma_f16 v70, v72, s35, v71
	v_pk_mul_f16 v84, v94, s28
	v_pk_add_f16 v47, v47, v70
	v_pk_fma_f16 v70, v74, s36, v73
	v_mul_f16_e32 v39, 0xbb29, v39
	v_pk_add_f16 v47, v47, v70
	v_pk_fma_f16 v70, v94, s37, v75
	v_mul_f16_e32 v94, 0xb836, v46
	v_add_f16_e32 v46, v25, v1
	v_add_f16_e32 v46, v46, v2
	;; [unrolled: 1-line block ×10, first 2 shown]
	v_pk_add_f16 v47, v47, v70
	v_pk_fma_f16 v70, v67, s38, v76
	v_add_f16_e32 v46, v33, v46
	v_pk_add_f16 v47, v47, v70
	v_pk_fma_f16 v70, v68, s39, v69
	v_add_f16_e32 v46, v34, v46
	;; [unrolled: 3-line block ×5, first 2 shown]
	v_pk_add_f16 v70, v47, v70
	v_add_f16_e32 v46, v38, v46
	v_alignbit_b32 v47, v93, v70, 16
	v_pack_b32_f16 v46, v46, v70
	v_mad_u32_u24 v70, v6, 34, 0
	v_pk_mul_f16 v72, v72, s26
	ds_write_b128 v70, v[46:49]
	v_bfi_b32 v39, s25, v39, v82
	v_bfi_b32 v46, s25, v85, v71
	v_mul_f16_e32 v40, 0xba62, v40
	v_pk_add_f16 v39, v46, v39 neg_lo:[0,1] neg_hi:[0,1]
	v_pk_add_f16 v46, v78, v72 op_sel:[1,1] op_sel_hi:[0,0] neg_lo:[0,1] neg_hi:[0,1]
	v_pk_add_f16 v39, v25, v39 op_sel_hi:[0,1]
	v_pk_add_f16 v25, v25, v46 op_sel_hi:[0,1]
	v_bfi_b32 v40, s25, v40, v55
	v_bfi_b32 v46, s25, v86, v73
	v_pk_mul_f16 v74, v74, s27
	v_mul_f16_e32 v41, 0x31e1, v41
	v_pk_add_f16 v40, v46, v40 neg_lo:[0,1] neg_hi:[0,1]
	v_pk_add_f16 v46, v66, v74 op_sel:[1,1] op_sel_hi:[0,0] neg_lo:[0,1] neg_hi:[0,1]
	v_pk_add_f16 v39, v39, v40
	v_bfi_b32 v40, s25, v41, v56
	v_bfi_b32 v41, s25, v87, v75
	v_mul_f16_e32 v42, 0x3bb2, v42
	v_pk_add_f16 v25, v25, v46
	v_pk_add_f16 v40, v41, v40 neg_lo:[0,1] neg_hi:[0,1]
	v_pk_add_f16 v41, v64, v84 op_sel:[1,1] op_sel_hi:[0,0] neg_lo:[0,1] neg_hi:[0,1]
	v_pk_mul_f16 v67, v67, s29
	v_pk_add_f16 v39, v39, v40
	v_pk_add_f16 v25, v25, v41
	v_bfi_b32 v40, s25, v42, v50
	v_bfi_b32 v41, s25, v88, v76
	v_mul_f16_e32 v43, 0x3964, v43
	v_pk_add_f16 v40, v41, v40 neg_lo:[0,1] neg_hi:[0,1]
	v_pk_add_f16 v41, v63, v67 op_sel:[1,1] op_sel_hi:[0,0] neg_lo:[0,1] neg_hi:[0,1]
	v_pk_mul_f16 v68, v68, s30
	v_pk_add_f16 v39, v39, v40
	v_pk_add_f16 v25, v25, v41
	v_bfi_b32 v40, s25, v43, v83
	v_bfi_b32 v41, s25, v89, v69
	v_mul_f16_e32 v44, 0xb5c8, v44
	;; [unrolled: 8-line block ×3, first 2 shown]
	v_pk_add_f16 v40, v41, v40 neg_lo:[0,1] neg_hi:[0,1]
	v_pk_add_f16 v41, v57, v62 op_sel:[1,1] op_sel_hi:[0,0] neg_lo:[0,1] neg_hi:[0,1]
	v_pk_mul_f16 v80, v80, s33
	v_pk_add_f16 v39, v39, v40
	v_pk_add_f16 v25, v25, v41
	v_bfi_b32 v40, s25, v45, v53
	v_bfi_b32 v41, s25, v91, v60
	v_pk_add_f16 v40, v41, v40 neg_lo:[0,1] neg_hi:[0,1]
	v_pk_add_f16 v41, v59, v80 op_sel:[1,1] op_sel_hi:[0,0] neg_lo:[0,1] neg_hi:[0,1]
	v_pk_mul_f16 v58, v58, s34
	v_pk_add_f16 v39, v39, v40
	v_pk_add_f16 v25, v25, v41
	v_bfi_b32 v40, s25, v94, v52
	v_bfi_b32 v41, s25, v92, v61
	v_pk_add_f16 v40, v41, v40 neg_lo:[0,1] neg_hi:[0,1]
	v_pk_add_f16 v41, v54, v58 op_sel:[1,1] op_sel_hi:[0,0] neg_lo:[0,1] neg_hi:[0,1]
	v_pk_add_f16 v43, v39, v40
	v_pk_add_f16 v42, v25, v41
	v_perm_b32 v40, v8, v7, s6
	v_alignbit_b32 v41, v77, v8, 16
	ds_write_b128 v70, v[40:43] offset:16
	ds_write_b16 v70, v51 offset:32
.LBB0_13:
	s_or_b64 exec, exec, s[2:3]
	v_add_f16_e32 v63, v13, v21
	v_sub_f16_e32 v64, v1, v38
	v_pk_mul_f16 v1, v63, s7 op_sel_hi:[0,1]
	v_pk_mul_f16 v42, v64, s11 op_sel_hi:[0,1]
	v_sub_f16_e32 v62, v2, v37
	v_sub_f16_e32 v2, v1, v42
	v_add_f16_e32 v56, v14, v22
	v_sub_f16_e32 v61, v3, v36
	v_add_f16_e32 v3, v0, v2
	v_pk_fma_f16 v2, v63, s7, v42 op_sel_hi:[0,1,1]
	v_sub_f16_e32 v60, v9, v35
	v_pk_add_f16 v9, v0, v2 op_sel_hi:[0,1]
	v_pk_mul_f16 v2, v56, s10 op_sel_hi:[0,1]
	v_pk_mul_f16 v43, v62, s14 op_sel_hi:[0,1]
	v_sub_f16_e32 v59, v10, v34
	v_sub_f16_e32 v10, v2, v43
	v_add_f16_e32 v55, v15, v23
	v_add_f16_e32 v10, v3, v10
	v_pk_fma_f16 v3, v56, s10, v43 op_sel_hi:[0,1,1]
	v_pk_add_f16 v9, v9, v3
	v_pk_mul_f16 v3, v55, s12 op_sel_hi:[0,1]
	v_pk_mul_f16 v44, v61, s16 op_sel_hi:[0,1]
	v_add_f16_e32 v54, v16, v24
	v_sub_f16_e32 v58, v11, v33
	v_sub_f16_e32 v11, v3, v44
	v_add_f16_e32 v10, v10, v11
	v_pk_fma_f16 v11, v55, s12, v44 op_sel_hi:[0,1,1]
	v_pk_mul_f16 v36, v54, s13 op_sel_hi:[0,1]
	v_pk_mul_f16 v45, v60, s18 op_sel_hi:[0,1]
	v_add_f16_e32 v53, v17, v26
	v_pk_add_f16 v9, v9, v11
	v_sub_f16_e32 v11, v36, v45
	v_add_f16_e32 v10, v10, v11
	v_pk_fma_f16 v11, v54, s13, v45 op_sel_hi:[0,1,1]
	v_pk_mul_f16 v37, v53, s15 op_sel_hi:[0,1]
	v_pk_mul_f16 v46, v59, s19 op_sel_hi:[0,1]
	v_add_f16_e32 v52, v18, v27
	v_pk_add_f16 v9, v9, v11
	v_sub_f16_e32 v11, v37, v46
	v_add_f16_e32 v10, v10, v11
	v_pk_fma_f16 v11, v53, s15, v46 op_sel_hi:[0,1,1]
	v_pk_mul_f16 v38, v52, s17 op_sel_hi:[0,1]
	v_pk_mul_f16 v47, v58, s21 op_sel_hi:[0,1]
	v_add_f16_e32 v51, v19, v28
	v_sub_f16_e32 v57, v12, v32
	v_pk_add_f16 v9, v9, v11
	v_sub_f16_e32 v11, v38, v47
	v_add_f16_e32 v10, v10, v11
	v_pk_fma_f16 v11, v52, s17, v47 op_sel_hi:[0,1,1]
	v_pk_mul_f16 v39, v51, s20 op_sel_hi:[0,1]
	v_pk_mul_f16 v48, v57, s22 op_sel_hi:[0,1]
	v_pk_add_f16 v9, v9, v11
	v_sub_f16_e32 v11, v39, v48
	v_add_f16_e32 v10, v10, v11
	v_pk_fma_f16 v11, v51, s20, v48 op_sel_hi:[0,1,1]
	v_pk_add_f16 v65, v9, v11
	v_lshl_add_u32 v11, v6, 1, 0
	v_sub_f16_e32 v50, v30, v31
	s_waitcnt lgkmcnt(0)
	s_barrier
	ds_read_u16 v25, v11
	ds_read_u16 v35, v11 offset:374
	ds_read_u16 v34, v11 offset:748
	;; [unrolled: 1-line block ×7, first 2 shown]
	v_add_f16_e32 v41, v20, v29
	v_pk_mul_f16 v40, v41, s23 op_sel_hi:[0,1]
	v_pk_mul_f16 v49, v50, s24 op_sel_hi:[0,1]
	v_pk_fma_f16 v66, v41, s23, v49 op_sel_hi:[0,1,1]
	v_sub_f16_e32 v9, v40, v49
	v_add_f16_e32 v9, v10, v9
	v_pk_add_f16 v10, v65, v66
	s_waitcnt lgkmcnt(0)
	s_barrier
	s_and_saveexec_b64 s[2:3], s[0:1]
	s_cbranch_execz .LBB0_15
; %bb.14:
	v_add_f16_e32 v13, v0, v13
	v_add_f16_e32 v13, v13, v14
	;; [unrolled: 1-line block ×13, first 2 shown]
	v_pack_b32_f16 v66, v64, v64
	v_perm_b32 v79, v0, v0, s6
	v_add_f16_e32 v13, v23, v13
	s_movk_i32 s0, 0x3722
	v_mul_f16_e32 v15, 0xbb29, v64
	s_mov_b32 s6, 0xbbb2bbf7
	v_add_f16_e32 v13, v22, v13
	v_fma_f16 v16, v63, s0, -v15
	v_pk_mul_f16 v18, v66, s6
	s_mov_b32 s6, 0xb8d2
	v_mul_f16_e32 v22, 0xba62, v62
	v_add_f16_e32 v16, v0, v16
	v_mul_f16_e32 v20, 0xba62, v64
	v_fma_f16 v23, v56, s6, -v22
	v_add_f16_e32 v13, v21, v13
	v_fma_f16 v21, v63, s6, v20
	v_add_f16_e32 v16, v16, v23
	s_mov_b32 s6, 0xb461
	v_mul_f16_e32 v23, 0x3bb2, v62
	v_add_f16_e32 v21, v0, v21
	v_fma_f16 v24, v56, s6, v23
	v_add_f16_e32 v21, v21, v24
	s_mov_b32 s7, 0xbbdd
	v_mul_f16_e32 v24, 0x31e1, v61
	v_fma_f16 v26, v55, s7, -v24
	v_add_f16_e32 v16, v16, v26
	s_movk_i32 s10, 0x3b76
	v_mul_f16_e32 v26, 0xb5c8, v61
	v_fma_f16 v27, v55, s10, v26
	v_add_f16_e32 v21, v21, v27
	v_mul_f16_e32 v27, 0x3bb2, v60
	v_fma_f16 v28, v54, s6, -v27
	v_add_f16_e32 v16, v16, v28
	s_mov_b32 s6, 0xbacd
	v_mul_f16_e32 v28, 0xb836, v60
	v_fma_f16 v29, v54, s6, v28
	v_add_f16_e32 v21, v21, v29
	s_movk_i32 s11, 0x39e9
	v_mul_f16_e32 v29, 0x3964, v59
	v_pack_b32_f16 v72, v60, v60
	v_pack_b32_f16 v74, v59, v59
	v_fma_f16 v60, v53, s11, -v29
	s_movk_i32 s12, 0x2de8
	v_mul_f16_e32 v59, 0x3bf7, v59
	v_add_f16_e32 v16, v16, v60
	v_fma_f16 v60, v53, s12, v59
	v_add_f16_e32 v21, v21, v60
	v_mul_f16_e32 v60, 0xb5c8, v58
	v_pack_b32_f16 v70, v61, v61
	v_pack_b32_f16 v76, v58, v58
	v_fma_f16 v61, v52, s10, -v60
	v_mul_f16_e32 v58, 0xb964, v58
	v_add_f16_e32 v16, v16, v61
	v_fma_f16 v61, v52, s11, v58
	v_add_f16_e32 v21, v21, v61
	v_mul_f16_e32 v61, 0xbbf7, v57
	v_pack_b32_f16 v68, v62, v62
	v_pack_b32_f16 v78, v57, v57
	v_fma_f16 v62, v51, s12, -v61
	v_mul_f16_e32 v57, 0xb1e1, v57
	s_mov_b32 s10, 0xb964b5c8
	v_pack_b32_f16 v65, v63, v63
	v_mul_f16_e32 v14, 0x3722, v63
	v_mul_f16_e32 v19, 0xb8d2, v63
	v_add_f16_e32 v16, v16, v62
	v_fma_f16 v62, v51, s7, v57
	s_mov_b32 s7, 0x39e93b76
	v_pk_mul_f16 v63, v66, s10
	v_pack_b32_f16 v67, v56, v56
	v_add_f16_e32 v21, v21, v62
	v_pk_mul_f16 v62, v65, s7
	v_pk_fma_f16 v66, v65, s7, v63 neg_lo:[0,0,1] neg_hi:[0,0,1]
	s_mov_b32 s7, 0x2de839e9
	s_mov_b32 s10, 0xbbf7b964
	v_add_f16_e32 v64, v62, v63
	v_pk_add_f16 v66, v79, v66
	v_pk_mul_f16 v79, v67, s7
	v_pk_mul_f16 v82, v68, s10
	v_add_f16_e32 v64, v0, v64
	v_add_f16_e32 v83, v79, v82
	v_pack_b32_f16 v69, v55, v55
	v_add_f16_e32 v64, v64, v83
	v_pk_fma_f16 v83, v67, s7, v82 neg_lo:[0,0,1] neg_hi:[0,0,1]
	s_mov_b32 s7, 0xb8d23722
	s_mov_b32 s10, 0xba62bb29
	v_pk_add_f16 v66, v66, v83
	v_pk_mul_f16 v83, v69, s7
	v_pk_mul_f16 v84, v70, s10
	v_pack_b32_f16 v71, v54, v54
	v_add_f16_e32 v85, v83, v84
	v_add_f16_e32 v64, v64, v85
	v_pk_fma_f16 v85, v69, s7, v84 neg_lo:[0,0,1] neg_hi:[0,0,1]
	s_mov_b32 s7, 0xbbdd2de8
	s_mov_b32 s10, 0xb1e1bbf7
	v_pk_add_f16 v66, v66, v85
	v_pk_mul_f16 v85, v71, s7
	v_pk_mul_f16 v86, v72, s10
	v_pack_b32_f16 v73, v53, v53
	v_add_f16_e32 v87, v85, v86
	;; [unrolled: 9-line block ×5, first 2 shown]
	s_mov_b32 s10, 0x35c8b1e1
	v_pack_b32_f16 v80, v41, v41
	v_add_f16_e32 v64, v64, v93
	v_pk_fma_f16 v93, v77, s7, v92 neg_lo:[0,0,1] neg_hi:[0,0,1]
	s_mov_b32 s7, 0x3b76bbdd
	v_pk_mul_f16 v94, v81, s10
	v_pk_add_f16 v66, v66, v93
	v_pk_mul_f16 v93, v80, s7
	v_pk_fma_f16 v95, v80, s7, v94 neg_lo:[0,0,1] neg_hi:[0,0,1]
	v_add_f16_e32 v96, v93, v94
	v_pk_add_f16 v66, v66, v95
	v_mul_f16_e32 v95, 0xb836, v50
	s_mov_b32 s1, 0xb4612de8
	v_add_f16_e32 v64, v64, v96
	v_fma_f16 v96, v41, s6, -v95
	s_mov_b32 s7, 0xffff
	v_pk_mul_f16 v17, v65, s1
	v_add_f16_e32 v96, v16, v96
	v_mul_f16_e32 v16, 0xb8d2, v56
	v_bfi_b32 v14, s7, v14, v62
	v_bfi_b32 v15, s7, v15, v63
	;; [unrolled: 1-line block ×4, first 2 shown]
	s_mov_b32 s6, 0xbacdbbdd
	s_mov_b32 s10, 0x3836b1e1
	v_mul_f16_e32 v56, 0xb461, v56
	v_mul_f16_e32 v63, 0xbbdd, v55
	v_pk_add_f16 v14, v14, v15
	v_bfi_b32 v16, s7, v16, v79
	v_bfi_b32 v22, s7, v22, v82
	v_pk_add_f16 v17, v17, v18 op_sel:[1,1] op_sel_hi:[0,0]
	v_pk_add_f16 v1, v1, v20 neg_lo:[0,1] neg_hi:[0,1]
	v_pk_fma_f16 v18, v65, s1, v18 neg_lo:[0,0,1] neg_hi:[0,0,1]
	v_pk_mul_f16 v62, v67, s6
	v_pk_mul_f16 v68, v68, s10
	s_mov_b32 s10, 0x39e9b461
	s_mov_b32 s11, 0x39643bb2
	v_mul_f16_e32 v79, 0xb461, v54
	v_pk_add_f16 v16, v16, v22
	v_pk_add_f16 v14, v0, v14 op_sel_hi:[0,1]
	v_pk_add_f16 v17, v0, v17 op_sel_hi:[0,1]
	v_bfi_b32 v63, s7, v63, v83
	v_bfi_b32 v24, s7, v24, v84
	v_pk_add_f16 v1, v0, v1 op_sel_hi:[0,1]
	v_pk_add_f16 v0, v0, v18 op_sel_hi:[0,1]
	v_bfi_b32 v18, s7, v23, v43
	v_bfi_b32 v2, s7, v56, v2
	v_pk_mul_f16 v15, v69, s10
	v_pk_mul_f16 v70, v70, s11
	v_mul_f16_e32 v55, 0x3b76, v55
	s_mov_b32 s11, 0x37223b76
	s_mov_b32 s12, 0xbb2935c8
	v_pk_add_f16 v14, v14, v16
	v_pk_add_f16 v62, v62, v68 op_sel:[1,1] op_sel_hi:[0,0]
	v_pk_add_f16 v24, v63, v24
	v_bfi_b32 v79, s7, v79, v85
	v_bfi_b32 v27, s7, v27, v86
	v_pk_add_f16 v2, v2, v18 neg_lo:[0,1] neg_hi:[0,1]
	v_pk_mul_f16 v82, v71, s11
	v_pk_mul_f16 v72, v72, s12
	v_mul_f16_e32 v22, 0x39e9, v53
	s_mov_b32 s12, 0xbbdd3722
	s_mov_b32 s13, 0xb1e1bb29
	v_pk_add_f16 v17, v17, v62
	v_pk_add_f16 v14, v14, v24
	v_pk_add_f16 v15, v15, v70 op_sel:[1,1] op_sel_hi:[0,0]
	v_pk_add_f16 v27, v79, v27
	v_pk_fma_f16 v18, v67, s6, v68 neg_lo:[0,0,1] neg_hi:[0,0,1]
	v_pk_add_f16 v1, v1, v2
	v_bfi_b32 v2, s7, v26, v44
	v_bfi_b32 v3, s7, v55, v3
	v_mul_f16_e32 v54, 0xbacd, v54
	v_pk_mul_f16 v16, v73, s12
	v_pk_mul_f16 v74, v74, s13
	v_pk_add_f16 v15, v17, v15
	v_pk_add_f16 v79, v82, v72 op_sel:[1,1] op_sel_hi:[0,0]
	v_pk_add_f16 v14, v14, v27
	v_bfi_b32 v22, s7, v22, v87
	v_bfi_b32 v27, s7, v29, v88
	v_pk_add_f16 v0, v0, v18
	v_pk_add_f16 v2, v3, v2 neg_lo:[0,1] neg_hi:[0,1]
	v_pk_fma_f16 v3, v69, s10, v70 neg_lo:[0,0,1] neg_hi:[0,0,1]
	v_mul_f16_e32 v62, 0x3b76, v52
	s_mov_b32 s13, 0x2de8bacd
	s_mov_b32 s14, 0x3bf7b836
	v_pk_add_f16 v15, v15, v79
	v_pk_add_f16 v22, v22, v27
	v_pk_add_f16 v16, v16, v74 op_sel:[1,1] op_sel_hi:[0,0]
	v_pk_add_f16 v1, v1, v2
	v_pk_add_f16 v0, v0, v3
	v_bfi_b32 v2, s7, v28, v45
	v_bfi_b32 v3, s7, v54, v36
	v_mul_f16_e32 v53, 0x2de8, v53
	v_pk_mul_f16 v83, v75, s13
	v_pk_mul_f16 v76, v76, s14
	v_pk_add_f16 v14, v14, v22
	v_pk_add_f16 v15, v15, v16
	v_bfi_b32 v16, s7, v62, v89
	v_bfi_b32 v22, s7, v60, v90
	v_pk_add_f16 v2, v3, v2 neg_lo:[0,1] neg_hi:[0,1]
	v_pk_fma_f16 v3, v71, s11, v72 neg_lo:[0,0,1] neg_hi:[0,0,1]
	v_mul_f16_e32 v84, 0x2de8, v51
	s_mov_b32 s14, 0x3b76b8d2
	s_mov_b32 s15, 0xb5c83a62
	v_pk_add_f16 v16, v16, v22
	v_pk_add_f16 v22, v83, v76 op_sel:[1,1] op_sel_hi:[0,0]
	v_pk_add_f16 v1, v1, v2
	v_pk_add_f16 v0, v0, v3
	v_bfi_b32 v2, s7, v59, v46
	v_bfi_b32 v3, s7, v53, v37
	v_mul_f16_e32 v52, 0x39e9, v52
	v_pk_mul_f16 v63, v77, s14
	v_pk_mul_f16 v78, v78, s15
	v_pk_add_f16 v14, v14, v16
	v_pk_add_f16 v15, v15, v22
	v_bfi_b32 v16, s7, v84, v91
	v_bfi_b32 v22, s7, v61, v92
	v_pk_add_f16 v2, v3, v2 neg_lo:[0,1] neg_hi:[0,1]
	v_pk_fma_f16 v3, v73, s12, v74 neg_lo:[0,0,1] neg_hi:[0,0,1]
	v_mul_f16_e32 v24, 0xbacd, v41
	s_mov_b32 s15, 0xb8d239e9
	s_mov_b32 s16, 0xba623964
	v_pk_add_f16 v16, v16, v22
	v_pk_add_f16 v22, v63, v78 op_sel:[1,1] op_sel_hi:[0,0]
	v_pk_add_f16 v1, v1, v2
	v_pk_add_f16 v0, v0, v3
	v_bfi_b32 v2, s7, v58, v47
	v_bfi_b32 v3, s7, v52, v38
	v_mul_f16_e32 v51, 0xbbdd, v51
	v_pk_mul_f16 v17, v80, s15
	v_pk_mul_f16 v81, v81, s16
	v_pk_add_f16 v14, v14, v16
	v_pk_add_f16 v15, v15, v22
	v_bfi_b32 v16, s7, v24, v93
	v_bfi_b32 v22, s7, v95, v94
	v_pk_add_f16 v2, v3, v2 neg_lo:[0,1] neg_hi:[0,1]
	v_pk_fma_f16 v3, v75, s13, v76 neg_lo:[0,0,1] neg_hi:[0,0,1]
	v_pk_add_f16 v16, v16, v22
	v_pk_add_f16 v22, v17, v81 op_sel:[1,1] op_sel_hi:[0,0]
	v_pk_add_f16 v1, v1, v2
	v_pk_add_f16 v0, v0, v3
	v_bfi_b32 v2, s7, v57, v48
	v_bfi_b32 v3, s7, v51, v39
	v_pk_add_f16 v17, v14, v16
	v_pk_add_f16 v16, v15, v22
	v_mul_f16_e32 v14, 0x3722, v41
	v_mul_f16_e32 v15, 0x3b29, v50
	v_pk_add_f16 v2, v3, v2 neg_lo:[0,1] neg_hi:[0,1]
	v_pk_fma_f16 v3, v77, s14, v78 neg_lo:[0,0,1] neg_hi:[0,0,1]
	v_fma_f16 v22, v41, s0, v15
	v_pk_add_f16 v1, v1, v2
	v_pk_add_f16 v0, v0, v3
	v_bfi_b32 v2, s7, v15, v49
	v_bfi_b32 v3, s7, v14, v40
	v_add_f16_e32 v21, v21, v22
	v_pk_add_f16 v2, v3, v2 neg_lo:[0,1] neg_hi:[0,1]
	v_pk_fma_f16 v14, v80, s15, v81 neg_lo:[0,0,1] neg_hi:[0,0,1]
	s_mov_b32 s0, 0x5040100
	v_pk_add_f16 v3, v1, v2
	v_pk_add_f16 v2, v0, v14
	v_lshl_add_u32 v18, v6, 5, v11
	v_alignbit_b32 v1, v96, v66, 16
	v_pack_b32_f16 v0, v13, v66
	v_perm_b32 v14, v10, v9, s0
	v_alignbit_b32 v15, v21, v10, 16
	ds_write_b128 v18, v[0:3]
	ds_write_b128 v18, v[14:17] offset:16
	ds_write_b16 v18, v64 offset:32
.LBB0_15:
	s_or_b64 exec, exec, s[2:3]
	s_movk_i32 s0, 0xf1
	v_mul_lo_u16_sdwa v0, v6, s0 dst_sel:DWORD dst_unused:UNUSED_PAD src0_sel:BYTE_0 src1_sel:DWORD
	v_lshrrev_b16_e32 v13, 12, v0
	v_mul_lo_u16_e32 v0, 17, v13
	v_sub_u16_e32 v17, v6, v0
	v_mov_b32_e32 v0, 7
	v_mul_u32_u24_sdwa v0, v17, v0 dst_sel:DWORD dst_unused:UNUSED_PAD src0_sel:BYTE_0 src1_sel:DWORD
	v_lshlrev_b32_e32 v18, 2, v0
	s_waitcnt lgkmcnt(0)
	s_barrier
	global_load_dwordx4 v[0:3], v18, s[4:5]
	global_load_dwordx3 v[14:16], v18, s[4:5] offset:16
	ds_read_u16 v19, v11
	ds_read_u16 v18, v11 offset:374
	ds_read_u16 v21, v11 offset:748
	;; [unrolled: 1-line block ×7, first 2 shown]
	v_mov_b32_e32 v24, 1
	v_mul_u32_u24_e32 v13, 0x110, v13
	v_lshlrev_b32_sdwa v17, v24, v17 dst_sel:DWORD dst_unused:UNUSED_PAD src0_sel:DWORD src1_sel:BYTE_0
	v_add3_u32 v24, 0, v13, v17
	s_movk_i32 s0, 0x39a8
	s_mov_b32 s1, 0xb9a8
	s_waitcnt lgkmcnt(0)
	s_barrier
	s_waitcnt vmcnt(1)
	v_mul_f16_sdwa v13, v18, v0 dst_sel:DWORD dst_unused:UNUSED_PAD src0_sel:DWORD src1_sel:WORD_1
	v_mul_f16_sdwa v17, v35, v0 dst_sel:DWORD dst_unused:UNUSED_PAD src0_sel:DWORD src1_sel:WORD_1
	;; [unrolled: 1-line block ×7, first 2 shown]
	s_waitcnt vmcnt(0)
	v_mul_f16_sdwa v39, v23, v14 dst_sel:DWORD dst_unused:UNUSED_PAD src0_sel:DWORD src1_sel:WORD_1
	v_mul_f16_sdwa v40, v32, v14 dst_sel:DWORD dst_unused:UNUSED_PAD src0_sel:DWORD src1_sel:WORD_1
	;; [unrolled: 1-line block ×6, first 2 shown]
	v_fma_f16 v13, v35, v0, v13
	v_fma_f16 v0, v18, v0, -v17
	v_fma_f16 v17, v34, v1, v28
	v_fma_f16 v1, v21, v1, -v29
	v_fma_f16 v18, v33, v2, v36
	v_fma_f16 v2, v22, v2, -v37
	v_fma_f16 v21, v12, v3, v38
	v_fma_f16 v28, v32, v14, v39
	v_fma_f16 v14, v23, v14, -v40
	v_fma_f16 v22, v31, v15, v41
	v_fma_f16 v15, v26, v15, -v42
	;; [unrolled: 2-line block ×3, first 2 shown]
	v_sub_f16_e32 v26, v25, v21
	v_sub_f16_e32 v21, v17, v22
	;; [unrolled: 1-line block ×7, first 2 shown]
	v_fma_f16 v29, v25, 2.0, -v26
	v_fma_f16 v17, v17, 2.0, -v21
	;; [unrolled: 1-line block ×6, first 2 shown]
	v_add_f16_e32 v18, v26, v22
	v_add_f16_e32 v16, v15, v16
	v_sub_f16_e32 v31, v14, v27
	v_sub_f16_e32 v17, v29, v17
	v_fma_f16 v32, v26, 2.0, -v18
	v_sub_f16_e32 v25, v13, v0
	v_fma_f16 v0, v15, 2.0, -v16
	;; [unrolled: 2-line block ×3, first 2 shown]
	v_fma_f16 v14, v16, s0, v18
	v_fma_f16 v34, v29, 2.0, -v17
	v_fma_f16 v13, v13, 2.0, -v25
	v_mul_f16_e32 v29, 0x39a8, v0
	v_fma_f16 v0, v0, s1, v32
	v_add_f16_e32 v2, v17, v28
	v_fma_f16 v15, v31, s0, v14
	v_sub_f16_e32 v14, v34, v13
	v_fma_f16 v13, v33, s0, v0
	s_movk_i32 s0, 0x88
	v_mul_f16_e32 v26, 0x39a8, v16
	v_mul_f16_e32 v27, 0x39a8, v31
	;; [unrolled: 1-line block ×3, first 2 shown]
	v_fma_f16 v17, v17, 2.0, -v2
	v_fma_f16 v16, v18, 2.0, -v15
	;; [unrolled: 1-line block ×4, first 2 shown]
	v_cmp_gt_u32_e64 s[0:1], s0, v6
	ds_write_b16 v24, v0
	ds_write_b16 v24, v18 offset:34
	ds_write_b16 v24, v17 offset:68
	;; [unrolled: 1-line block ×7, first 2 shown]
	s_waitcnt lgkmcnt(0)
	s_barrier
	s_and_saveexec_b64 s[2:3], s[0:1]
	s_cbranch_execz .LBB0_17
; %bb.16:
	ds_read_u16 v7, v11 offset:2176
	ds_read_u16 v8, v11 offset:2448
	;; [unrolled: 1-line block ×3, first 2 shown]
	ds_read_u16 v0, v11
	ds_read_u16 v18, v11 offset:272
	ds_read_u16 v17, v11 offset:544
	;; [unrolled: 1-line block ×7, first 2 shown]
	s_mov_b32 s6, 0x5040100
	s_waitcnt lgkmcnt(8)
	v_perm_b32 v8, v31, v8, s6
.LBB0_17:
	s_or_b64 exec, exec, s[2:3]
	v_mul_f16_sdwa v12, v12, v3 dst_sel:DWORD dst_unused:UNUSED_PAD src0_sel:DWORD src1_sel:WORD_1
	v_fma_f16 v3, v20, v3, -v12
	v_sub_f16_e32 v3, v19, v3
	v_fma_f16 v12, v19, 2.0, -v3
	v_fma_f16 v1, v1, 2.0, -v22
	v_sub_f16_e32 v20, v12, v1
	v_sub_f16_e32 v21, v3, v21
	v_fma_f16 v1, v12, 2.0, -v20
	v_fma_f16 v19, v3, 2.0, -v21
	;; [unrolled: 1-line block ×3, first 2 shown]
	v_sub_f16_e32 v12, v1, v3
	v_sub_f16_e32 v3, v19, v30
	;; [unrolled: 1-line block ×3, first 2 shown]
	v_fma_f16 v23, v19, 2.0, -v3
	v_sub_f16_e32 v19, v20, v25
	v_fma_f16 v22, v20, 2.0, -v19
	v_add_f16_e32 v20, v21, v27
	v_sub_f16_e32 v20, v20, v26
	v_fma_f16 v1, v1, 2.0, -v12
	v_fma_f16 v21, v21, 2.0, -v20
	s_waitcnt lgkmcnt(0)
	s_barrier
	ds_write_b16 v24, v1
	ds_write_b16 v24, v23 offset:34
	ds_write_b16 v24, v22 offset:68
	ds_write_b16 v24, v21 offset:102
	ds_write_b16 v24, v12 offset:136
	ds_write_b16 v24, v3 offset:170
	ds_write_b16 v24, v19 offset:204
	ds_write_b16 v24, v20 offset:238
	s_waitcnt lgkmcnt(0)
	s_barrier
	s_and_saveexec_b64 s[2:3], s[0:1]
	s_cbranch_execnz .LBB0_20
; %bb.18:
	s_or_b64 exec, exec, s[2:3]
	s_and_b64 s[0:1], vcc, s[0:1]
	s_and_saveexec_b64 s[2:3], s[0:1]
	s_cbranch_execnz .LBB0_21
.LBB0_19:
	s_endpgm
.LBB0_20:
	ds_read_u16 v9, v11 offset:2176
	ds_read_u16 v10, v11 offset:2448
	;; [unrolled: 1-line block ×3, first 2 shown]
	ds_read_u16 v1, v11
	ds_read_u16 v23, v11 offset:272
	ds_read_u16 v22, v11 offset:544
	;; [unrolled: 1-line block ×7, first 2 shown]
	s_mov_b32 s6, 0x5040100
	s_waitcnt lgkmcnt(8)
	v_perm_b32 v10, v24, v10, s6
	s_or_b64 exec, exec, s[2:3]
	s_and_b64 s[0:1], vcc, s[0:1]
	s_and_saveexec_b64 s[2:3], s[0:1]
	s_cbranch_execz .LBB0_19
.LBB0_21:
	v_mul_u32_u24_e32 v11, 10, v6
	v_lshlrev_b32_e32 v11, 2, v11
	global_load_dwordx4 v[24:27], v11, s[4:5] offset:476
	global_load_dwordx2 v[32:33], v11, s[4:5] offset:508
	global_load_dwordx4 v[28:31], v11, s[4:5] offset:492
	v_lshrrev_b32_e32 v34, 16, v10
	v_lshrrev_b32_e32 v11, 16, v8
	s_mov_b32 s1, 0xb08e
	s_mov_b32 s0, 0xbbad
	s_movk_i32 s3, 0x36a6
	s_movk_i32 s5, 0x3abb
	s_mov_b32 s7, 0xb93d
	s_movk_i32 s11, 0x3b47
	s_movk_i32 s15, 0x3a0c
	s_mov_b32 s12, 0xb482
	s_mov_b32 s2, 0xbbeb
	;; [unrolled: 1-line block ×5, first 2 shown]
	s_movk_i32 s4, 0x3482
	s_movk_i32 s13, 0x3beb
	;; [unrolled: 1-line block ×3, first 2 shown]
	s_waitcnt vmcnt(2) lgkmcnt(6)
	v_mul_f16_sdwa v35, v23, v24 dst_sel:DWORD dst_unused:UNUSED_PAD src0_sel:DWORD src1_sel:WORD_1
	s_waitcnt vmcnt(1)
	v_mul_f16_sdwa v36, v34, v33 dst_sel:DWORD dst_unused:UNUSED_PAD src0_sel:DWORD src1_sel:WORD_1
	v_mul_f16_sdwa v37, v11, v33 dst_sel:DWORD dst_unused:UNUSED_PAD src0_sel:DWORD src1_sel:WORD_1
	;; [unrolled: 1-line block ×3, first 2 shown]
	s_waitcnt lgkmcnt(5)
	v_mul_f16_sdwa v39, v22, v25 dst_sel:DWORD dst_unused:UNUSED_PAD src0_sel:DWORD src1_sel:WORD_1
	v_mul_f16_sdwa v40, v10, v32 dst_sel:DWORD dst_unused:UNUSED_PAD src0_sel:DWORD src1_sel:WORD_1
	v_fma_f16 v18, v18, v24, v35
	v_fma_f16 v11, v11, v33, v36
	v_mul_f16_sdwa v41, v8, v32 dst_sel:DWORD dst_unused:UNUSED_PAD src0_sel:DWORD src1_sel:WORD_1
	v_mul_f16_sdwa v42, v17, v25 dst_sel:DWORD dst_unused:UNUSED_PAD src0_sel:DWORD src1_sel:WORD_1
	s_waitcnt lgkmcnt(4)
	v_mul_f16_sdwa v43, v21, v26 dst_sel:DWORD dst_unused:UNUSED_PAD src0_sel:DWORD src1_sel:WORD_1
	s_waitcnt vmcnt(0)
	v_mul_f16_sdwa v44, v9, v31 dst_sel:DWORD dst_unused:UNUSED_PAD src0_sel:DWORD src1_sel:WORD_1
	v_mul_f16_sdwa v46, v16, v26 dst_sel:DWORD dst_unused:UNUSED_PAD src0_sel:DWORD src1_sel:WORD_1
	v_fma_f16 v33, v34, v33, -v37
	v_fma_f16 v23, v23, v24, -v38
	v_fma_f16 v17, v17, v25, v39
	v_fma_f16 v8, v8, v32, v40
	v_sub_f16_e32 v24, v18, v11
	v_mul_f16_sdwa v45, v7, v31 dst_sel:DWORD dst_unused:UNUSED_PAD src0_sel:DWORD src1_sel:WORD_1
	s_waitcnt lgkmcnt(3)
	v_mul_f16_sdwa v47, v12, v27 dst_sel:DWORD dst_unused:UNUSED_PAD src0_sel:DWORD src1_sel:WORD_1
	s_waitcnt lgkmcnt(0)
	v_mul_f16_sdwa v48, v20, v30 dst_sel:DWORD dst_unused:UNUSED_PAD src0_sel:DWORD src1_sel:WORD_1
	v_mul_f16_sdwa v50, v14, v27 dst_sel:DWORD dst_unused:UNUSED_PAD src0_sel:DWORD src1_sel:WORD_1
	;; [unrolled: 1-line block ×4, first 2 shown]
	v_fma_f16 v10, v10, v32, -v41
	v_fma_f16 v22, v22, v25, -v42
	v_fma_f16 v16, v16, v26, v43
	v_fma_f16 v7, v7, v31, v44
	v_fma_f16 v21, v21, v26, -v46
	v_add_f16_e32 v25, v23, v33
	v_sub_f16_e32 v26, v17, v8
	v_mul_f16_e32 v39, 0xbbeb, v24
	v_mul_f16_sdwa v49, v15, v30 dst_sel:DWORD dst_unused:UNUSED_PAD src0_sel:DWORD src1_sel:WORD_1
	v_mul_f16_sdwa v52, v19, v29 dst_sel:DWORD dst_unused:UNUSED_PAD src0_sel:DWORD src1_sel:WORD_1
	;; [unrolled: 1-line block ×3, first 2 shown]
	v_fma_f16 v9, v9, v31, -v45
	v_fma_f16 v14, v14, v27, v47
	v_fma_f16 v15, v15, v30, v48
	v_fma_f16 v12, v12, v27, -v50
	v_fma_f16 v13, v13, v28, v51
	v_fma_f16 v3, v3, v28, -v54
	v_add_f16_e32 v27, v22, v10
	v_sub_f16_e32 v28, v16, v7
	v_mul_f16_e32 v40, 0x3482, v26
	v_fma_f16 v46, v25, s1, v39
	v_fma_f16 v20, v20, v30, -v49
	v_fma_f16 v2, v2, v29, v52
	v_fma_f16 v19, v19, v29, -v53
	v_add_f16_e32 v29, v21, v9
	v_sub_f16_e32 v30, v14, v15
	v_mul_f16_e32 v41, 0x3b47, v28
	v_fma_f16 v47, v27, s0, v40
	v_add_f16_e32 v46, v1, v46
	v_add_f16_e32 v31, v12, v20
	v_sub_f16_e32 v32, v13, v2
	v_sub_f16_e32 v36, v23, v33
	v_mul_f16_e32 v42, 0xb853, v30
	v_fma_f16 v48, v29, s3, v41
	v_add_f16_e32 v46, v46, v47
	v_add_f16_e32 v34, v3, v19
	;; [unrolled: 1-line block ×3, first 2 shown]
	v_sub_f16_e32 v38, v22, v10
	v_mul_f16_e32 v43, 0xba0c, v32
	v_mul_f16_e32 v44, 0xbbeb, v36
	v_fma_f16 v49, v31, s5, v42
	v_add_f16_e32 v46, v46, v48
	v_add_f16_e32 v37, v17, v8
	v_mul_f16_e32 v45, 0x3482, v38
	v_fma_f16 v50, v34, s7, v43
	v_fma_f16 v51, v35, s1, -v44
	v_add_f16_e32 v46, v46, v49
	v_sub_f16_e32 v49, v21, v9
	v_fma_f16 v52, v37, s0, -v45
	v_add_f16_e32 v51, v0, v51
	v_add_f16_e32 v46, v46, v50
	;; [unrolled: 1-line block ×3, first 2 shown]
	v_mul_f16_e32 v50, 0x3b47, v49
	v_add_f16_e32 v47, v51, v52
	v_fma_f16 v51, v48, s3, -v50
	v_sub_f16_e32 v52, v12, v20
	v_add_f16_e32 v47, v47, v51
	v_add_f16_e32 v51, v14, v15
	v_mul_f16_e32 v53, 0xb853, v52
	v_fma_f16 v54, v51, s5, -v53
	v_sub_f16_e32 v55, v3, v19
	v_add_f16_e32 v47, v47, v54
	v_add_f16_e32 v54, v13, v2
	v_mul_f16_e32 v56, 0xba0c, v55
	v_fma_f16 v39, v25, s1, -v39
	v_add_f16_e32 v18, v0, v18
	v_fma_f16 v57, v54, s7, -v56
	v_add_f16_e32 v39, v1, v39
	v_fma_f16 v40, v27, s0, -v40
	v_add_f16_e32 v17, v18, v17
	v_add_f16_e32 v47, v47, v57
	v_mul_f16_e32 v57, 0xba0c, v24
	v_add_f16_e32 v39, v39, v40
	v_fma_f16 v40, v29, s3, -v41
	v_add_f16_e32 v16, v17, v16
	v_fma_f16 v58, v25, s7, v57
	v_mul_f16_e32 v59, 0x3beb, v26
	v_add_f16_e32 v39, v39, v40
	v_fma_f16 v40, v31, s5, -v42
	v_add_f16_e32 v14, v16, v14
	v_add_f16_e32 v58, v1, v58
	v_fma_f16 v60, v27, s1, v59
	v_add_f16_e32 v39, v39, v40
	v_fma_f16 v40, v34, s7, -v43
	v_add_f16_e32 v13, v14, v13
	v_add_f16_e32 v58, v58, v60
	v_mul_f16_e32 v60, 0xb853, v28
	v_add_f16_e32 v39, v39, v40
	v_fma_f16 v40, v35, s1, v44
	v_add_f16_e32 v2, v13, v2
	v_fma_f16 v61, v29, s5, v60
	;; [unrolled: 2-line block ×3, first 2 shown]
	v_add_f16_e32 v2, v15, v2
	v_add_f16_e32 v58, v58, v61
	v_mul_f16_e32 v61, 0xb482, v30
	v_add_f16_e32 v40, v40, v41
	v_fma_f16 v41, v48, s3, v50
	v_add_f16_e32 v2, v7, v2
	v_fma_f16 v62, v31, s0, v61
	;; [unrolled: 2-line block ×3, first 2 shown]
	v_add_f16_e32 v2, v8, v2
	v_add_f16_e32 v58, v58, v62
	v_mul_f16_e32 v62, 0x3b47, v32
	v_add_f16_e32 v40, v40, v41
	v_fma_f16 v41, v54, s7, v56
	v_add_f16_e32 v7, v11, v2
	v_add_f16_e32 v2, v1, v23
	v_fma_f16 v63, v34, s3, v62
	v_fma_f16 v57, v25, s7, -v57
	v_add_f16_e32 v40, v40, v41
	v_mul_f16_e32 v41, 0x36a6, v25
	v_add_f16_e32 v2, v2, v22
	v_add_f16_e32 v58, v58, v63
	v_mul_f16_e32 v63, 0xba0c, v36
	v_add_f16_e32 v57, v1, v57
	v_fma_f16 v59, v27, s1, -v59
	v_fma_f16 v42, v24, s11, v41
	v_mul_f16_e32 v43, 0xb93d, v27
	v_add_f16_e32 v2, v2, v21
	v_fma_f16 v64, v35, s7, -v63
	v_mul_f16_e32 v65, 0x3beb, v38
	v_add_f16_e32 v57, v57, v59
	v_fma_f16 v59, v29, s5, -v60
	v_add_f16_e32 v42, v1, v42
	v_fma_f16 v44, v26, s15, v43
	v_add_f16_e32 v2, v2, v12
	v_add_f16_e32 v64, v0, v64
	v_fma_f16 v66, v37, s1, -v65
	v_add_f16_e32 v57, v57, v59
	v_fma_f16 v59, v31, s0, -v61
	v_add_f16_e32 v42, v42, v44
	v_mul_f16_e32 v44, 0xbbad, v29
	v_add_f16_e32 v2, v2, v3
	v_add_f16_e32 v64, v64, v66
	v_mul_f16_e32 v66, 0xb853, v49
	v_add_f16_e32 v57, v57, v59
	v_fma_f16 v59, v34, s3, -v62
	v_fma_f16 v45, v28, s12, v44
	v_add_f16_e32 v2, v2, v19
	v_fma_f16 v67, v48, s5, -v66
	v_add_f16_e32 v57, v57, v59
	v_fma_f16 v59, v35, s7, v63
	v_add_f16_e32 v42, v42, v45
	v_mul_f16_e32 v45, 0xb08e, v31
	v_add_f16_e32 v2, v20, v2
	v_add_f16_e32 v64, v64, v67
	v_mul_f16_e32 v67, 0xb482, v52
	v_add_f16_e32 v59, v0, v59
	v_fma_f16 v60, v37, s1, v65
	v_fma_f16 v50, v30, s2, v45
	v_add_f16_e32 v2, v9, v2
	v_fma_f16 v68, v51, s0, -v67
	v_add_f16_e32 v59, v59, v60
	v_fma_f16 v60, v48, s5, v66
	v_add_f16_e32 v42, v42, v50
	v_mul_f16_e32 v50, 0x3abb, v34
	v_add_f16_e32 v2, v10, v2
	v_add_f16_e32 v64, v64, v68
	v_mul_f16_e32 v68, 0x3b47, v55
	v_add_f16_e32 v59, v59, v60
	v_fma_f16 v60, v51, s0, v67
	v_fma_f16 v53, v32, s6, v50
	v_add_f16_e32 v8, v33, v2
	v_fma_f16 v2, v24, s16, v41
	v_fma_f16 v69, v54, s3, -v68
	v_add_f16_e32 v59, v59, v60
	v_fma_f16 v60, v54, s3, v68
	v_add_f16_e32 v42, v42, v53
	v_mul_f16_e32 v53, 0xbb47, v36
	v_add_f16_e32 v2, v1, v2
	v_fma_f16 v3, v26, s10, v43
	v_add_f16_e32 v64, v64, v69
	v_mul_f16_e32 v69, 0xb482, v24
	v_add_f16_e32 v59, v59, v60
	v_fma_f16 v56, v35, s3, v53
	v_mul_f16_e32 v60, 0xba0c, v38
	v_add_f16_e32 v2, v2, v3
	v_fma_f16 v3, v28, s4, v44
	v_fma_f16 v70, v25, s0, v69
	v_mul_f16_e32 v71, 0x3853, v26
	v_add_f16_e32 v56, v0, v56
	v_fma_f16 v61, v37, s7, v60
	v_add_f16_e32 v2, v2, v3
	v_fma_f16 v3, v30, s13, v45
	;; [unrolled: 2-line block ×3, first 2 shown]
	v_add_f16_e32 v56, v56, v61
	v_mul_f16_e32 v61, 0x3482, v49
	v_add_f16_e32 v2, v2, v3
	v_fma_f16 v3, v32, s14, v50
	v_add_f16_e32 v70, v70, v72
	v_mul_f16_e32 v72, 0xba0c, v28
	v_fma_f16 v62, v48, s0, v61
	v_add_f16_e32 v9, v2, v3
	v_fma_f16 v2, v35, s3, -v53
	v_fma_f16 v73, v29, s7, v72
	v_add_f16_e32 v56, v56, v62
	v_mul_f16_e32 v62, 0x3beb, v52
	v_add_f16_e32 v2, v0, v2
	v_fma_f16 v3, v37, s7, -v60
	v_add_f16_e32 v70, v70, v73
	v_mul_f16_e32 v73, 0x3b47, v30
	v_fma_f16 v63, v51, s1, v62
	v_add_f16_e32 v2, v2, v3
	v_fma_f16 v3, v48, s0, -v61
	v_fma_f16 v74, v31, s3, v73
	v_add_f16_e32 v56, v56, v63
	v_mul_f16_e32 v63, 0x3853, v55
	v_add_f16_e32 v2, v2, v3
	v_fma_f16 v3, v51, s1, -v62
	v_add_f16_e32 v70, v70, v74
	v_mul_f16_e32 v74, 0xbbeb, v32
	v_fma_f16 v69, v25, s0, -v69
	v_fma_f16 v65, v54, s5, v63
	v_mul_f16_e32 v25, 0x3abb, v25
	v_add_f16_e32 v2, v2, v3
	v_fma_f16 v3, v54, s5, -v63
	v_fma_f16 v75, v34, s1, v74
	v_add_f16_e32 v69, v1, v69
	v_fma_f16 v71, v27, s5, -v71
	v_add_f16_e32 v56, v56, v65
	v_fma_f16 v65, v24, s14, v25
	v_mul_f16_e32 v27, 0x36a6, v27
	v_add_f16_e32 v10, v2, v3
	v_fma_f16 v2, v24, s6, v25
	v_add_f16_e32 v70, v70, v75
	v_mul_f16_e32 v75, 0xb482, v36
	v_add_f16_e32 v69, v69, v71
	v_fma_f16 v71, v29, s7, -v72
	v_add_f16_e32 v65, v1, v65
	v_fma_f16 v66, v26, s11, v27
	v_mul_f16_e32 v29, 0xb08e, v29
	v_add_f16_e32 v1, v1, v2
	v_fma_f16 v2, v26, s16, v27
	v_fma_f16 v76, v35, s0, -v75
	v_mul_f16_e32 v77, 0x3853, v38
	v_add_f16_e32 v69, v69, v71
	v_fma_f16 v71, v31, s3, -v73
	v_add_f16_e32 v65, v65, v66
	v_fma_f16 v66, v28, s13, v29
	v_mul_f16_e32 v31, 0xb93d, v31
	v_add_f16_e32 v1, v1, v2
	v_fma_f16 v2, v28, s2, v29
	v_add_f16_e32 v76, v0, v76
	v_fma_f16 v78, v37, s5, -v77
	v_add_f16_e32 v69, v69, v71
	v_fma_f16 v71, v34, s1, -v74
	v_add_f16_e32 v65, v65, v66
	v_fma_f16 v66, v30, s15, v31
	v_mul_f16_e32 v34, 0xbbad, v34
	v_add_f16_e32 v1, v1, v2
	v_fma_f16 v2, v30, s10, v31
	v_add_f16_e32 v76, v76, v78
	v_mul_f16_e32 v78, 0xba0c, v49
	v_add_f16_e32 v65, v65, v66
	v_fma_f16 v66, v32, s4, v34
	v_mul_f16_e32 v36, 0xb853, v36
	v_add_f16_e32 v1, v1, v2
	v_fma_f16 v2, v32, s12, v34
	v_fma_f16 v79, v48, s7, -v78
	v_add_f16_e32 v69, v69, v71
	v_fma_f16 v71, v35, s0, v75
	v_add_f16_e32 v65, v65, v66
	v_fma_f16 v66, v35, s5, v36
	v_mul_f16_e32 v38, 0xbb47, v38
	v_add_f16_e32 v11, v1, v2
	v_fma_f16 v1, v35, s5, -v36
	v_add_f16_e32 v76, v76, v79
	v_mul_f16_e32 v79, 0x3b47, v52
	v_add_f16_e32 v71, v0, v71
	v_add_f16_e32 v66, v0, v66
	v_mul_f16_e32 v49, 0xbbeb, v49
	v_add_f16_e32 v0, v0, v1
	v_fma_f16 v1, v37, s3, -v38
	v_fma_f16 v80, v51, s3, -v79
	v_fma_f16 v72, v37, s5, v77
	v_fma_f16 v67, v37, s3, v38
	v_mul_f16_e32 v52, 0xba0c, v52
	v_add_f16_e32 v0, v0, v1
	v_fma_f16 v1, v48, s1, -v49
	v_add_f16_e32 v76, v76, v80
	v_mul_f16_e32 v80, 0xbbeb, v55
	v_add_f16_e32 v71, v71, v72
	v_fma_f16 v72, v48, s7, v78
	v_add_f16_e32 v66, v66, v67
	v_fma_f16 v67, v48, s1, v49
	v_mul_f16_e32 v55, 0xb482, v55
	v_add_f16_e32 v0, v0, v1
	v_fma_f16 v1, v51, s7, -v52
	v_add_f16_e32 v71, v71, v72
	v_fma_f16 v72, v51, s3, v79
	v_add_f16_e32 v66, v66, v67
	v_fma_f16 v67, v51, s7, v52
	v_add_f16_e32 v0, v0, v1
	v_fma_f16 v1, v54, s0, -v55
	v_fma_f16 v81, v54, s1, -v80
	v_add_f16_e32 v71, v71, v72
	v_fma_f16 v72, v54, s1, v80
	v_add_f16_e32 v66, v66, v67
	v_fma_f16 v67, v54, s0, v55
	v_add_f16_e32 v12, v0, v1
	v_mad_u64_u32 v[0:1], s[0:1], s8, v6, 0
	v_mov_b32_e32 v2, v1
	v_mad_u64_u32 v[2:3], s[0:1], s9, v6, v[2:3]
	v_mov_b32_e32 v1, v2
	v_lshl_add_u64 v[0:1], v[0:1], 2, v[4:5]
	v_pack_b32_f16 v2, v7, v8
	v_add_u32_e32 v3, 0x88, v6
	global_store_dword v[0:1], v2, off
	v_mad_u64_u32 v[0:1], s[0:1], s8, v3, 0
	v_mov_b32_e32 v2, v1
	v_mad_u64_u32 v[2:3], s[0:1], s9, v3, v[2:3]
	v_add_f16_e32 v66, v66, v67
	v_mov_b32_e32 v1, v2
	v_lshl_add_u64 v[0:1], v[0:1], 2, v[4:5]
	v_pack_b32_f16 v2, v66, v65
	v_add_u32_e32 v3, 0x110, v6
	global_store_dword v[0:1], v2, off
	v_mad_u64_u32 v[0:1], s[0:1], s8, v3, 0
	v_mov_b32_e32 v2, v1
	v_mad_u64_u32 v[2:3], s[0:1], s9, v3, v[2:3]
	v_mov_b32_e32 v1, v2
	v_lshl_add_u64 v[0:1], v[0:1], 2, v[4:5]
	v_pack_b32_f16 v2, v56, v42
	v_add_u32_e32 v3, 0x198, v6
	global_store_dword v[0:1], v2, off
	v_mad_u64_u32 v[0:1], s[0:1], s8, v3, 0
	v_mov_b32_e32 v2, v1
	v_mad_u64_u32 v[2:3], s[0:1], s9, v3, v[2:3]
	;; [unrolled: 8-line block ×4, first 2 shown]
	v_add_f16_e32 v71, v71, v72
	v_mov_b32_e32 v1, v2
	v_lshl_add_u64 v[0:1], v[0:1], 2, v[4:5]
	v_pack_b32_f16 v2, v71, v69
	v_add_u32_e32 v3, 0x330, v6
	global_store_dword v[0:1], v2, off
	v_mad_u64_u32 v[0:1], s[0:1], s8, v3, 0
	v_mov_b32_e32 v2, v1
	v_mad_u64_u32 v[2:3], s[0:1], s9, v3, v[2:3]
	v_add_f16_e32 v76, v76, v81
	v_mov_b32_e32 v1, v2
	v_lshl_add_u64 v[0:1], v[0:1], 2, v[4:5]
	v_pack_b32_f16 v2, v76, v70
	v_add_u32_e32 v3, 0x3b8, v6
	global_store_dword v[0:1], v2, off
	v_mad_u64_u32 v[0:1], s[0:1], s8, v3, 0
	v_mov_b32_e32 v2, v1
	v_mad_u64_u32 v[2:3], s[0:1], s9, v3, v[2:3]
	v_mov_b32_e32 v1, v2
	v_lshl_add_u64 v[0:1], v[0:1], 2, v[4:5]
	v_pack_b32_f16 v2, v64, v58
	v_add_u32_e32 v3, 0x440, v6
	global_store_dword v[0:1], v2, off
	v_mad_u64_u32 v[0:1], s[0:1], s8, v3, 0
	v_mov_b32_e32 v2, v1
	v_mad_u64_u32 v[2:3], s[0:1], s9, v3, v[2:3]
	v_mov_b32_e32 v1, v2
	v_lshl_add_u64 v[0:1], v[0:1], 2, v[4:5]
	v_pack_b32_f16 v2, v47, v46
	v_add_u32_e32 v3, 0x4c8, v6
	global_store_dword v[0:1], v2, off
	v_mad_u64_u32 v[0:1], s[0:1], s8, v3, 0
	v_mov_b32_e32 v2, v1
	v_mad_u64_u32 v[2:3], s[0:1], s9, v3, v[2:3]
	v_mov_b32_e32 v1, v2
	v_lshl_add_u64 v[0:1], v[0:1], 2, v[4:5]
	v_pack_b32_f16 v2, v10, v9
	v_add_u32_e32 v3, 0x550, v6
	global_store_dword v[0:1], v2, off
	v_mad_u64_u32 v[0:1], s[0:1], s8, v3, 0
	v_mov_b32_e32 v2, v1
	v_mad_u64_u32 v[2:3], s[0:1], s9, v3, v[2:3]
	v_mov_b32_e32 v1, v2
	v_lshl_add_u64 v[0:1], v[0:1], 2, v[4:5]
	v_pack_b32_f16 v2, v12, v11
	global_store_dword v[0:1], v2, off
	s_endpgm
	.section	.rodata,"a",@progbits
	.p2align	6, 0x0
	.amdhsa_kernel fft_rtc_back_len1496_factors_17_8_11_wgs_187_tpt_187_halfLds_half_ip_CI_sbrr_dirReg
		.amdhsa_group_segment_fixed_size 0
		.amdhsa_private_segment_fixed_size 0
		.amdhsa_kernarg_size 88
		.amdhsa_user_sgpr_count 2
		.amdhsa_user_sgpr_dispatch_ptr 0
		.amdhsa_user_sgpr_queue_ptr 0
		.amdhsa_user_sgpr_kernarg_segment_ptr 1
		.amdhsa_user_sgpr_dispatch_id 0
		.amdhsa_user_sgpr_kernarg_preload_length 0
		.amdhsa_user_sgpr_kernarg_preload_offset 0
		.amdhsa_user_sgpr_private_segment_size 0
		.amdhsa_uses_dynamic_stack 0
		.amdhsa_enable_private_segment 0
		.amdhsa_system_sgpr_workgroup_id_x 1
		.amdhsa_system_sgpr_workgroup_id_y 0
		.amdhsa_system_sgpr_workgroup_id_z 0
		.amdhsa_system_sgpr_workgroup_info 0
		.amdhsa_system_vgpr_workitem_id 0
		.amdhsa_next_free_vgpr 97
		.amdhsa_next_free_sgpr 43
		.amdhsa_accum_offset 100
		.amdhsa_reserve_vcc 1
		.amdhsa_float_round_mode_32 0
		.amdhsa_float_round_mode_16_64 0
		.amdhsa_float_denorm_mode_32 3
		.amdhsa_float_denorm_mode_16_64 3
		.amdhsa_dx10_clamp 1
		.amdhsa_ieee_mode 1
		.amdhsa_fp16_overflow 0
		.amdhsa_tg_split 0
		.amdhsa_exception_fp_ieee_invalid_op 0
		.amdhsa_exception_fp_denorm_src 0
		.amdhsa_exception_fp_ieee_div_zero 0
		.amdhsa_exception_fp_ieee_overflow 0
		.amdhsa_exception_fp_ieee_underflow 0
		.amdhsa_exception_fp_ieee_inexact 0
		.amdhsa_exception_int_div_zero 0
	.end_amdhsa_kernel
	.text
.Lfunc_end0:
	.size	fft_rtc_back_len1496_factors_17_8_11_wgs_187_tpt_187_halfLds_half_ip_CI_sbrr_dirReg, .Lfunc_end0-fft_rtc_back_len1496_factors_17_8_11_wgs_187_tpt_187_halfLds_half_ip_CI_sbrr_dirReg
                                        ; -- End function
	.section	.AMDGPU.csdata,"",@progbits
; Kernel info:
; codeLenInByte = 11716
; NumSgprs: 49
; NumVgprs: 97
; NumAgprs: 0
; TotalNumVgprs: 97
; ScratchSize: 0
; MemoryBound: 0
; FloatMode: 240
; IeeeMode: 1
; LDSByteSize: 0 bytes/workgroup (compile time only)
; SGPRBlocks: 6
; VGPRBlocks: 12
; NumSGPRsForWavesPerEU: 49
; NumVGPRsForWavesPerEU: 97
; AccumOffset: 100
; Occupancy: 4
; WaveLimiterHint : 1
; COMPUTE_PGM_RSRC2:SCRATCH_EN: 0
; COMPUTE_PGM_RSRC2:USER_SGPR: 2
; COMPUTE_PGM_RSRC2:TRAP_HANDLER: 0
; COMPUTE_PGM_RSRC2:TGID_X_EN: 1
; COMPUTE_PGM_RSRC2:TGID_Y_EN: 0
; COMPUTE_PGM_RSRC2:TGID_Z_EN: 0
; COMPUTE_PGM_RSRC2:TIDIG_COMP_CNT: 0
; COMPUTE_PGM_RSRC3_GFX90A:ACCUM_OFFSET: 24
; COMPUTE_PGM_RSRC3_GFX90A:TG_SPLIT: 0
	.text
	.p2alignl 6, 3212836864
	.fill 256, 4, 3212836864
	.type	__hip_cuid_c6d85b68fd0d37b7,@object ; @__hip_cuid_c6d85b68fd0d37b7
	.section	.bss,"aw",@nobits
	.globl	__hip_cuid_c6d85b68fd0d37b7
__hip_cuid_c6d85b68fd0d37b7:
	.byte	0                               ; 0x0
	.size	__hip_cuid_c6d85b68fd0d37b7, 1

	.ident	"AMD clang version 19.0.0git (https://github.com/RadeonOpenCompute/llvm-project roc-6.4.0 25133 c7fe45cf4b819c5991fe208aaa96edf142730f1d)"
	.section	".note.GNU-stack","",@progbits
	.addrsig
	.addrsig_sym __hip_cuid_c6d85b68fd0d37b7
	.amdgpu_metadata
---
amdhsa.kernels:
  - .agpr_count:     0
    .args:
      - .actual_access:  read_only
        .address_space:  global
        .offset:         0
        .size:           8
        .value_kind:     global_buffer
      - .offset:         8
        .size:           8
        .value_kind:     by_value
      - .actual_access:  read_only
        .address_space:  global
        .offset:         16
        .size:           8
        .value_kind:     global_buffer
      - .actual_access:  read_only
        .address_space:  global
        .offset:         24
        .size:           8
        .value_kind:     global_buffer
      - .offset:         32
        .size:           8
        .value_kind:     by_value
      - .actual_access:  read_only
        .address_space:  global
        .offset:         40
        .size:           8
        .value_kind:     global_buffer
      - .actual_access:  read_only
        .address_space:  global
        .offset:         48
        .size:           8
        .value_kind:     global_buffer
      - .offset:         56
        .size:           4
        .value_kind:     by_value
      - .actual_access:  read_only
        .address_space:  global
        .offset:         64
        .size:           8
        .value_kind:     global_buffer
      - .actual_access:  read_only
        .address_space:  global
        .offset:         72
        .size:           8
        .value_kind:     global_buffer
      - .address_space:  global
        .offset:         80
        .size:           8
        .value_kind:     global_buffer
    .group_segment_fixed_size: 0
    .kernarg_segment_align: 8
    .kernarg_segment_size: 88
    .language:       OpenCL C
    .language_version:
      - 2
      - 0
    .max_flat_workgroup_size: 187
    .name:           fft_rtc_back_len1496_factors_17_8_11_wgs_187_tpt_187_halfLds_half_ip_CI_sbrr_dirReg
    .private_segment_fixed_size: 0
    .sgpr_count:     49
    .sgpr_spill_count: 0
    .symbol:         fft_rtc_back_len1496_factors_17_8_11_wgs_187_tpt_187_halfLds_half_ip_CI_sbrr_dirReg.kd
    .uniform_work_group_size: 1
    .uses_dynamic_stack: false
    .vgpr_count:     97
    .vgpr_spill_count: 0
    .wavefront_size: 64
amdhsa.target:   amdgcn-amd-amdhsa--gfx950
amdhsa.version:
  - 1
  - 2
...

	.end_amdgpu_metadata
